;; amdgpu-corpus repo=ROCm/rocFFT kind=compiled arch=gfx950 opt=O3
	.text
	.amdgcn_target "amdgcn-amd-amdhsa--gfx950"
	.amdhsa_code_object_version 6
	.protected	fft_rtc_fwd_len1456_factors_13_4_7_2_2_wgs_182_tpt_182_halfLds_half_op_CI_CI_sbrr_dirReg ; -- Begin function fft_rtc_fwd_len1456_factors_13_4_7_2_2_wgs_182_tpt_182_halfLds_half_op_CI_CI_sbrr_dirReg
	.globl	fft_rtc_fwd_len1456_factors_13_4_7_2_2_wgs_182_tpt_182_halfLds_half_op_CI_CI_sbrr_dirReg
	.p2align	8
	.type	fft_rtc_fwd_len1456_factors_13_4_7_2_2_wgs_182_tpt_182_halfLds_half_op_CI_CI_sbrr_dirReg,@function
fft_rtc_fwd_len1456_factors_13_4_7_2_2_wgs_182_tpt_182_halfLds_half_op_CI_CI_sbrr_dirReg: ; @fft_rtc_fwd_len1456_factors_13_4_7_2_2_wgs_182_tpt_182_halfLds_half_op_CI_CI_sbrr_dirReg
; %bb.0:
	s_load_dwordx4 s[12:15], s[0:1], 0x18
	s_load_dwordx4 s[8:11], s[0:1], 0x0
	;; [unrolled: 1-line block ×3, first 2 shown]
	v_mul_u32_u24_e32 v1, 0x169, v0
	v_add_u32_sdwa v6, s2, v1 dst_sel:DWORD dst_unused:UNUSED_PAD src0_sel:DWORD src1_sel:WORD_1
	s_waitcnt lgkmcnt(0)
	s_load_dwordx2 s[18:19], s[12:13], 0x0
	s_load_dwordx2 s[16:17], s[14:15], 0x0
	v_mov_b32_e32 v4, 0
	v_cmp_lt_u64_e64 s[2:3], s[10:11], 2
	v_mov_b32_e32 v7, v4
	s_and_b64 vcc, exec, s[2:3]
	v_mov_b64_e32 v[2:3], 0
	s_cbranch_vccnz .LBB0_8
; %bb.1:
	s_load_dwordx2 s[2:3], s[0:1], 0x10
	s_add_u32 s20, s14, 8
	s_addc_u32 s21, s15, 0
	s_add_u32 s22, s12, 8
	s_addc_u32 s23, s13, 0
	s_waitcnt lgkmcnt(0)
	s_add_u32 s24, s2, 8
	v_mov_b64_e32 v[2:3], 0
	s_addc_u32 s25, s3, 0
	s_mov_b64 s[26:27], 1
	v_mov_b64_e32 v[8:9], v[2:3]
.LBB0_2:                                ; =>This Inner Loop Header: Depth=1
	s_load_dwordx2 s[28:29], s[24:25], 0x0
                                        ; implicit-def: $vgpr12_vgpr13
	s_waitcnt lgkmcnt(0)
	v_or_b32_e32 v5, s29, v7
	v_cmp_ne_u64_e32 vcc, 0, v[4:5]
	s_and_saveexec_b64 s[2:3], vcc
	s_xor_b64 s[30:31], exec, s[2:3]
	s_cbranch_execz .LBB0_4
; %bb.3:                                ;   in Loop: Header=BB0_2 Depth=1
	v_cvt_f32_u32_e32 v1, s28
	v_cvt_f32_u32_e32 v5, s29
	s_sub_u32 s2, 0, s28
	s_subb_u32 s3, 0, s29
	v_fmac_f32_e32 v1, 0x4f800000, v5
	v_rcp_f32_e32 v1, v1
	s_nop 0
	v_mul_f32_e32 v1, 0x5f7ffffc, v1
	v_mul_f32_e32 v5, 0x2f800000, v1
	v_trunc_f32_e32 v5, v5
	v_fmac_f32_e32 v1, 0xcf800000, v5
	v_cvt_u32_f32_e32 v5, v5
	v_cvt_u32_f32_e32 v1, v1
	v_mul_lo_u32 v10, s2, v5
	v_mul_hi_u32 v12, s2, v1
	v_mul_lo_u32 v11, s3, v1
	v_add_u32_e32 v12, v12, v10
	v_mul_lo_u32 v14, s2, v1
	v_add_u32_e32 v15, v12, v11
	v_mul_hi_u32 v10, v1, v14
	v_mul_hi_u32 v13, v1, v15
	v_mul_lo_u32 v12, v1, v15
	v_mov_b32_e32 v11, v4
	v_lshl_add_u64 v[10:11], v[10:11], 0, v[12:13]
	v_mul_hi_u32 v13, v5, v14
	v_mul_lo_u32 v14, v5, v14
	v_add_co_u32_e32 v10, vcc, v10, v14
	v_mul_hi_u32 v12, v5, v15
	s_nop 0
	v_addc_co_u32_e32 v10, vcc, v11, v13, vcc
	v_mov_b32_e32 v11, v4
	s_nop 0
	v_addc_co_u32_e32 v13, vcc, 0, v12, vcc
	v_mul_lo_u32 v12, v5, v15
	v_lshl_add_u64 v[10:11], v[10:11], 0, v[12:13]
	v_add_co_u32_e32 v1, vcc, v1, v10
	v_mul_lo_u32 v12, s2, v1
	s_nop 0
	v_addc_co_u32_e32 v5, vcc, v5, v11, vcc
	v_mul_lo_u32 v10, s2, v5
	v_mul_hi_u32 v11, s2, v1
	v_add_u32_e32 v10, v11, v10
	v_mul_lo_u32 v11, s3, v1
	v_add_u32_e32 v14, v10, v11
	v_mul_hi_u32 v16, v5, v12
	v_mul_lo_u32 v17, v5, v12
	v_mul_hi_u32 v11, v1, v14
	v_mul_lo_u32 v10, v1, v14
	v_mul_hi_u32 v12, v1, v12
	v_mov_b32_e32 v13, v4
	v_lshl_add_u64 v[10:11], v[12:13], 0, v[10:11]
	v_add_co_u32_e32 v10, vcc, v10, v17
	v_mul_hi_u32 v15, v5, v14
	s_nop 0
	v_addc_co_u32_e32 v10, vcc, v11, v16, vcc
	v_mul_lo_u32 v12, v5, v14
	s_nop 0
	v_addc_co_u32_e32 v13, vcc, 0, v15, vcc
	v_mov_b32_e32 v11, v4
	v_lshl_add_u64 v[10:11], v[10:11], 0, v[12:13]
	v_add_co_u32_e32 v1, vcc, v1, v10
	v_mul_hi_u32 v12, v6, v1
	s_nop 0
	v_addc_co_u32_e32 v5, vcc, v5, v11, vcc
	v_mad_u64_u32 v[10:11], s[2:3], v6, v5, 0
	v_mov_b32_e32 v13, v4
	v_lshl_add_u64 v[10:11], v[12:13], 0, v[10:11]
	v_mad_u64_u32 v[14:15], s[2:3], v7, v1, 0
	v_add_co_u32_e32 v1, vcc, v10, v14
	v_mad_u64_u32 v[12:13], s[2:3], v7, v5, 0
	s_nop 0
	v_addc_co_u32_e32 v10, vcc, v11, v15, vcc
	v_mov_b32_e32 v11, v4
	s_nop 0
	v_addc_co_u32_e32 v13, vcc, 0, v13, vcc
	v_lshl_add_u64 v[10:11], v[10:11], 0, v[12:13]
	v_mul_lo_u32 v1, s29, v10
	v_mul_lo_u32 v5, s28, v11
	v_mad_u64_u32 v[12:13], s[2:3], s28, v10, 0
	v_add3_u32 v1, v13, v5, v1
	v_sub_u32_e32 v5, v7, v1
	v_mov_b32_e32 v13, s29
	v_sub_co_u32_e32 v16, vcc, v6, v12
	v_lshl_add_u64 v[14:15], v[10:11], 0, 1
	s_nop 0
	v_subb_co_u32_e64 v5, s[2:3], v5, v13, vcc
	v_subrev_co_u32_e64 v12, s[2:3], s28, v16
	v_subb_co_u32_e32 v1, vcc, v7, v1, vcc
	s_nop 0
	v_subbrev_co_u32_e64 v5, s[2:3], 0, v5, s[2:3]
	v_cmp_le_u32_e64 s[2:3], s29, v5
	v_cmp_le_u32_e32 vcc, s29, v1
	s_nop 0
	v_cndmask_b32_e64 v13, 0, -1, s[2:3]
	v_cmp_le_u32_e64 s[2:3], s28, v12
	s_nop 1
	v_cndmask_b32_e64 v12, 0, -1, s[2:3]
	v_cmp_eq_u32_e64 s[2:3], s29, v5
	s_nop 1
	v_cndmask_b32_e64 v5, v13, v12, s[2:3]
	v_lshl_add_u64 v[12:13], v[10:11], 0, 2
	v_cmp_ne_u32_e64 s[2:3], 0, v5
	s_nop 1
	v_cndmask_b32_e64 v5, v15, v13, s[2:3]
	v_cndmask_b32_e64 v13, 0, -1, vcc
	v_cmp_le_u32_e32 vcc, s28, v16
	s_nop 1
	v_cndmask_b32_e64 v15, 0, -1, vcc
	v_cmp_eq_u32_e32 vcc, s29, v1
	s_nop 1
	v_cndmask_b32_e32 v1, v13, v15, vcc
	v_cmp_ne_u32_e32 vcc, 0, v1
	v_cndmask_b32_e64 v1, v14, v12, s[2:3]
	s_nop 0
	v_cndmask_b32_e32 v13, v11, v5, vcc
	v_cndmask_b32_e32 v12, v10, v1, vcc
.LBB0_4:                                ;   in Loop: Header=BB0_2 Depth=1
	s_andn2_saveexec_b64 s[2:3], s[30:31]
	s_cbranch_execz .LBB0_6
; %bb.5:                                ;   in Loop: Header=BB0_2 Depth=1
	v_cvt_f32_u32_e32 v1, s28
	s_sub_i32 s30, 0, s28
	v_mov_b32_e32 v13, v4
	v_rcp_iflag_f32_e32 v1, v1
	s_nop 0
	v_mul_f32_e32 v1, 0x4f7ffffe, v1
	v_cvt_u32_f32_e32 v1, v1
	v_mul_lo_u32 v5, s30, v1
	v_mul_hi_u32 v5, v1, v5
	v_add_u32_e32 v1, v1, v5
	v_mul_hi_u32 v1, v6, v1
	v_mul_lo_u32 v5, v1, s28
	v_sub_u32_e32 v5, v6, v5
	v_add_u32_e32 v10, 1, v1
	v_subrev_u32_e32 v11, s28, v5
	v_cmp_le_u32_e32 vcc, s28, v5
	s_nop 1
	v_cndmask_b32_e32 v5, v5, v11, vcc
	v_cndmask_b32_e32 v1, v1, v10, vcc
	v_add_u32_e32 v10, 1, v1
	v_cmp_le_u32_e32 vcc, s28, v5
	s_nop 1
	v_cndmask_b32_e32 v12, v1, v10, vcc
.LBB0_6:                                ;   in Loop: Header=BB0_2 Depth=1
	s_or_b64 exec, exec, s[2:3]
	v_mad_u64_u32 v[10:11], s[2:3], v12, s28, 0
	s_load_dwordx2 s[2:3], s[22:23], 0x0
	v_mul_lo_u32 v1, v13, s28
	v_mul_lo_u32 v5, v12, s29
	s_load_dwordx2 s[28:29], s[20:21], 0x0
	s_add_u32 s26, s26, 1
	v_add3_u32 v1, v11, v5, v1
	v_sub_co_u32_e32 v5, vcc, v6, v10
	s_addc_u32 s27, s27, 0
	s_nop 0
	v_subb_co_u32_e32 v1, vcc, v7, v1, vcc
	s_add_u32 s20, s20, 8
	s_waitcnt lgkmcnt(0)
	v_mul_lo_u32 v6, s2, v1
	v_mul_lo_u32 v7, s3, v5
	v_mad_u64_u32 v[2:3], s[2:3], s2, v5, v[2:3]
	s_addc_u32 s21, s21, 0
	v_add3_u32 v3, v7, v3, v6
	v_mul_lo_u32 v1, s28, v1
	v_mul_lo_u32 v6, s29, v5
	v_mad_u64_u32 v[8:9], s[2:3], s28, v5, v[8:9]
	s_add_u32 s22, s22, 8
	v_add3_u32 v9, v6, v9, v1
	s_addc_u32 s23, s23, 0
	v_mov_b64_e32 v[6:7], s[10:11]
	s_add_u32 s24, s24, 8
	v_cmp_ge_u64_e32 vcc, s[26:27], v[6:7]
	s_addc_u32 s25, s25, 0
	s_cbranch_vccnz .LBB0_9
; %bb.7:                                ;   in Loop: Header=BB0_2 Depth=1
	v_mov_b64_e32 v[6:7], v[12:13]
	s_branch .LBB0_2
.LBB0_8:
	v_mov_b64_e32 v[8:9], v[2:3]
	v_mov_b64_e32 v[12:13], v[6:7]
.LBB0_9:
	s_load_dwordx2 s[0:1], s[0:1], 0x28
	s_lshl_b64 s[20:21], s[10:11], 3
	s_mov_b32 s10, 0x1681682
	v_mul_hi_u32 v1, v0, s10
	v_mul_u32_u24_e32 v1, 0xb6, v1
	s_waitcnt lgkmcnt(0)
	v_cmp_gt_u64_e32 vcc, s[0:1], v[12:13]
	v_sub_u32_e32 v10, v0, v1
	s_movk_i32 s0, 0x70
	s_add_u32 s2, s14, s20
	v_cmp_gt_u32_e64 s[0:1], s0, v10
	s_addc_u32 s3, s15, s21
	s_and_b64 s[14:15], vcc, s[0:1]
	v_mov_b32_e32 v0, 0
	v_mov_b32_e32 v30, 0
                                        ; implicit-def: $vgpr1
                                        ; implicit-def: $vgpr16
                                        ; implicit-def: $vgpr4
                                        ; implicit-def: $vgpr17
                                        ; implicit-def: $vgpr5
                                        ; implicit-def: $vgpr18
                                        ; implicit-def: $vgpr6
                                        ; implicit-def: $vgpr26
                                        ; implicit-def: $vgpr7
                                        ; implicit-def: $vgpr27
                                        ; implicit-def: $vgpr19
                                        ; implicit-def: $vgpr28
                                        ; implicit-def: $vgpr20
                                        ; implicit-def: $vgpr29
                                        ; implicit-def: $vgpr21
                                        ; implicit-def: $vgpr31
                                        ; implicit-def: $vgpr22
                                        ; implicit-def: $vgpr32
                                        ; implicit-def: $vgpr23
                                        ; implicit-def: $vgpr33
                                        ; implicit-def: $vgpr24
                                        ; implicit-def: $vgpr35
                                        ; implicit-def: $vgpr25
                                        ; implicit-def: $vgpr34
	s_and_saveexec_b64 s[10:11], s[14:15]
	s_cbranch_execz .LBB0_11
; %bb.10:
	s_add_u32 s12, s12, s20
	s_addc_u32 s13, s13, s21
	s_load_dwordx2 s[12:13], s[12:13], 0x0
	v_add_u32_e32 v11, 0xe0, v10
	s_waitcnt lgkmcnt(0)
	v_mul_lo_u32 v4, s13, v12
	v_mul_lo_u32 v5, s12, v13
	v_mad_u64_u32 v[0:1], s[12:13], s12, v12, 0
	v_add3_u32 v1, v1, v5, v4
	v_mad_u64_u32 v[4:5], s[12:13], s18, v10, 0
	v_mov_b32_e32 v6, v5
	v_mad_u64_u32 v[6:7], s[12:13], s19, v10, v[6:7]
	v_lshl_add_u64 v[0:1], v[0:1], 2, s[4:5]
	v_mov_b32_e32 v5, v6
	v_lshl_add_u64 v[0:1], v[2:3], 2, v[0:1]
	v_add_u32_e32 v7, 0x70, v10
	v_lshl_add_u64 v[2:3], v[4:5], 2, v[0:1]
	v_mad_u64_u32 v[4:5], s[4:5], s18, v7, 0
	v_mov_b32_e32 v6, v5
	v_mad_u64_u32 v[6:7], s[4:5], s19, v7, v[6:7]
	v_mov_b32_e32 v5, v6
	;; [unrolled: 2-line block ×3, first 2 shown]
	v_mad_u64_u32 v[14:15], s[4:5], s19, v11, v[14:15]
	v_add_u32_e32 v11, 0x150, v10
	v_mov_b32_e32 v7, v14
	v_mad_u64_u32 v[14:15], s[4:5], s18, v11, 0
	v_mov_b32_e32 v16, v15
	v_mad_u64_u32 v[16:17], s[4:5], s19, v11, v[16:17]
	v_add_u32_e32 v11, 0x1c0, v10
	v_mov_b32_e32 v15, v16
	v_mad_u64_u32 v[16:17], s[4:5], s18, v11, 0
	v_mov_b32_e32 v18, v17
	v_mad_u64_u32 v[18:19], s[4:5], s19, v11, v[18:19]
	v_mov_b32_e32 v17, v18
	v_add_u32_e32 v11, 0x230, v10
	v_lshl_add_u64 v[20:21], v[16:17], 2, v[0:1]
	v_mad_u64_u32 v[16:17], s[4:5], s18, v11, 0
	v_mov_b32_e32 v18, v17
	v_mad_u64_u32 v[18:19], s[4:5], s19, v11, v[18:19]
	v_mov_b32_e32 v17, v18
	v_add_u32_e32 v11, 0x2a0, v10
	v_lshl_add_u64 v[22:23], v[16:17], 2, v[0:1]
	;; [unrolled: 6-line block ×3, first 2 shown]
	v_mad_u64_u32 v[16:17], s[4:5], s18, v11, 0
	v_mov_b32_e32 v18, v17
	v_mad_u64_u32 v[18:19], s[4:5], s19, v11, v[18:19]
	v_lshl_add_u64 v[4:5], v[4:5], 2, v[0:1]
	v_mov_b32_e32 v17, v18
	v_lshl_add_u64 v[6:7], v[6:7], 2, v[0:1]
	v_lshl_add_u64 v[14:15], v[14:15], 2, v[0:1]
	;; [unrolled: 1-line block ×3, first 2 shown]
	global_load_dword v30, v[2:3], off
	global_load_dword v16, v[4:5], off
	;; [unrolled: 1-line block ×8, first 2 shown]
	v_or_b32_e32 v5, 0x380, v10
	v_mad_u64_u32 v[2:3], s[4:5], s18, v5, 0
	v_mov_b32_e32 v4, v3
	v_mad_u64_u32 v[4:5], s[4:5], s19, v5, v[4:5]
	v_add_u32_e32 v7, 0x3f0, v10
	v_mov_b32_e32 v3, v4
	v_mad_u64_u32 v[4:5], s[4:5], s18, v7, 0
	v_mov_b32_e32 v6, v5
	v_mad_u64_u32 v[6:7], s[4:5], s19, v7, v[6:7]
	v_add_u32_e32 v11, 0x460, v10
	v_mov_b32_e32 v5, v6
	;; [unrolled: 5-line block ×4, first 2 shown]
	v_mad_u64_u32 v[20:21], s[4:5], s18, v11, 0
	v_mov_b32_e32 v22, v21
	v_mad_u64_u32 v[22:23], s[4:5], s19, v11, v[22:23]
	v_lshl_add_u64 v[2:3], v[2:3], 2, v[0:1]
	v_mov_b32_e32 v21, v22
	v_lshl_add_u64 v[4:5], v[4:5], 2, v[0:1]
	v_lshl_add_u64 v[6:7], v[6:7], 2, v[0:1]
	;; [unrolled: 1-line block ×4, first 2 shown]
	global_load_dword v31, v[2:3], off
	global_load_dword v32, v[4:5], off
	;; [unrolled: 1-line block ×5, first 2 shown]
	s_waitcnt vmcnt(12)
	v_lshrrev_b32_e32 v0, 16, v30
	s_waitcnt vmcnt(11)
	v_lshrrev_b32_e32 v1, 16, v16
	;; [unrolled: 2-line block ×13, first 2 shown]
.LBB0_11:
	s_or_b64 exec, exec, s[10:11]
	v_add_f16_e32 v40, v16, v35
	v_sub_f16_e32 v44, v1, v24
	v_mul_f16_e32 v2, 0x2fb7, v40
	s_mov_b32 s4, 0xbbf1
	v_fma_f16 v3, v44, s4, v2
	v_add_f16_e32 v42, v17, v33
	v_add_f16_e32 v11, v30, v3
	v_sub_f16_e32 v48, v4, v23
	v_mul_f16_e32 v3, 0xbbc4, v42
	s_mov_b32 s4, 0xb3a8
	v_add_f16_e32 v46, v18, v34
	v_fma_f16 v14, v48, s4, v3
	v_sub_f16_e32 v52, v5, v25
	v_mul_f16_e32 v36, 0xb5ac, v46
	s_movk_i32 s4, 0x3b7b
	v_add_f16_e32 v50, v26, v32
	v_add_f16_e32 v11, v14, v11
	v_fma_f16 v14, v52, s4, v36
	v_sub_f16_e32 v60, v6, v22
	v_mul_f16_e32 v37, 0x3b15, v50
	s_movk_i32 s4, 0x3770
	v_add_f16_e32 v53, v27, v31
	v_add_f16_e32 v11, v11, v14
	v_fma_f16 v14, v60, s4, v37
	v_sub_f16_e32 v62, v7, v21
	v_mul_f16_e32 v38, 0x388b, v53
	s_mov_b32 s4, 0xba95
	s_mov_b32 s10, 0x3b15388b
	v_add_f16_e32 v11, v14, v11
	v_fma_f16 v14, v62, s4, v38
	v_pk_mul_f16 v41, v40, s10 op_sel_hi:[0,1]
	s_mov_b32 s28, 0xb770ba95
	s_mov_b32 s11, 0x388bb5ac
	v_add_f16_e32 v14, v14, v11
	v_pk_fma_f16 v11, v44, s28, v41 op_sel_hi:[0,1,1]
	v_pk_mul_f16 v43, v42, s11 op_sel_hi:[0,1]
	s_mov_b32 s19, 0xba95bb7b
	s_mov_b32 s12, 0x2fb7bbc4
	v_pk_add_f16 v11, v30, v11 op_sel_hi:[0,1]
	v_pk_fma_f16 v15, v48, s19, v43 op_sel_hi:[0,1,1]
	v_pk_mul_f16 v45, v46, s12 op_sel_hi:[0,1]
	s_mov_b32 s31, 0xbbf1b3a8
	s_mov_b32 s13, 0xb5acb9fd
	v_pk_add_f16 v11, v15, v11
	v_pk_fma_f16 v15, v52, s31, v45 op_sel_hi:[0,1,1]
	v_pk_mul_f16 v47, v50, s13 op_sel_hi:[0,1]
	s_mov_b32 s20, 0xbb7b394e
	s_mov_b32 s14, 0xb9fd2fb7
	v_add_f16_e32 v61, v28, v29
	v_pk_add_f16 v11, v11, v15
	v_pk_fma_f16 v15, v60, s20, v47 op_sel_hi:[0,1,1]
	v_pk_mul_f16 v49, v53, s14 op_sel_hi:[0,1]
	s_mov_b32 s36, 0xb94e3bf1
	s_mov_b32 s18, 0xbbc43b15
	v_sub_f16_e32 v63, v19, v20
	v_pk_add_f16 v11, v15, v11
	v_pk_fma_f16 v15, v62, s36, v49 op_sel_hi:[0,1,1]
	v_pk_mul_f16 v51, v61, s18 op_sel_hi:[0,1]
	s_mov_b32 s21, 0xb3a83770
	v_pk_add_f16 v11, v15, v11
	v_pk_fma_f16 v15, v63, s21, v51 op_sel_hi:[0,1,1]
	v_mul_f16_e32 v39, 0xb9fd, v61
	s_mov_b32 s4, 0xb94e
	v_pk_add_f16 v11, v15, v11
	v_fma_f16 v15, v63, s4, v39
	v_pk_mul_f16 v54, v40, s13 op_sel_hi:[0,1]
	s_mov_b32 s29, 0xbb7bb94e
	v_add_f16_e32 v14, v15, v14
	v_pk_fma_f16 v15, v44, s29, v54 op_sel_hi:[0,1,1]
	v_pk_mul_f16 v55, v42, s14 op_sel_hi:[0,1]
	s_mov_b32 s30, 0x394e3bf1
	v_pk_add_f16 v15, v30, v15 op_sel_hi:[0,1]
	v_pk_fma_f16 v56, v48, s30, v55 op_sel_hi:[0,1,1]
	v_pk_add_f16 v15, v56, v15
	v_pk_mul_f16 v56, v46, s10 op_sel_hi:[0,1]
	s_mov_b32 s33, 0x3770ba95
	v_pk_fma_f16 v57, v52, s33, v56 op_sel_hi:[0,1,1]
	v_pk_add_f16 v15, v15, v57
	v_pk_mul_f16 v57, v50, s12 op_sel_hi:[0,1]
	s_mov_b32 s34, 0xbbf133a8
	;; [unrolled: 4-line block ×4, first 2 shown]
	v_pk_fma_f16 v64, v63, s37, v59 op_sel_hi:[0,1,1]
	s_movk_i32 s22, 0x2fb7
	s_mov_b32 s24, 0xbbc4
	s_mov_b32 s23, 0xb5ac
	s_movk_i32 s25, 0x3b15
	s_movk_i32 s26, 0x388b
	s_mov_b32 s15, 0x5040100
	s_mov_b32 s27, 0xb9fd
	v_pk_add_f16 v15, v64, v15
	s_and_saveexec_b64 s[4:5], s[0:1]
	s_cbranch_execz .LBB0_13
; %bb.12:
	v_mul_f16_e32 v76, 0xb3a8, v44
	v_fma_f16 v77, v40, s24, v76
	v_mul_f16_e32 v78, 0x3770, v48
	v_add_f16_e32 v77, v30, v77
	v_fma_f16 v79, v42, s25, v78
	v_add_f16_e32 v77, v79, v77
	v_mul_f16_e32 v79, 0xb94e, v52
	v_fma_f16 v80, v46, s27, v79
	v_pk_mul_f16 v69, v44, s28 op_sel_hi:[0,1]
	v_add_f16_e32 v77, v77, v80
	v_mul_f16_e32 v80, 0x3a95, v60
	v_fma_f16 v40, v40, s24, -v76
	v_perm_b32 v70, v30, v30, s15
	v_pk_mul_f16 v71, v48, s19 op_sel_hi:[0,1]
	v_fma_f16 v81, v50, s26, v80
	v_add_f16_e32 v40, v30, v40
	v_fma_f16 v42, v42, s25, -v78
	v_pk_add_f16 v41, v41, v69 neg_lo:[0,1] neg_hi:[0,1]
	v_pk_mul_f16 v72, v52, s31 op_sel_hi:[0,1]
	v_add_f16_e32 v77, v81, v77
	v_mul_f16_e32 v81, 0xbb7b, v62
	v_add_f16_e32 v40, v42, v40
	v_fma_f16 v42, v46, s27, -v79
	v_pk_add_f16 v41, v70, v41
	v_pk_add_f16 v43, v43, v71 neg_lo:[0,1] neg_hi:[0,1]
	v_pk_mul_f16 v73, v60, s20 op_sel_hi:[0,1]
	v_fma_f16 v82, v53, s23, v81
	v_add_f16_e32 v40, v40, v42
	v_fma_f16 v42, v50, s26, -v80
	v_pk_add_f16 v41, v43, v41
	v_pk_add_f16 v43, v45, v72 neg_lo:[0,1] neg_hi:[0,1]
	v_pk_mul_f16 v74, v62, s36 op_sel_hi:[0,1]
	v_add_f16_e32 v77, v82, v77
	v_mul_f16_e32 v82, 0x3bf1, v63
	v_add_f16_e32 v40, v42, v40
	v_fma_f16 v42, v53, s23, -v81
	v_pk_add_f16 v41, v41, v43
	v_pk_add_f16 v43, v47, v73 neg_lo:[0,1] neg_hi:[0,1]
	v_mul_f16_e32 v64, 0xbbf1, v44
	v_pk_mul_f16 v75, v63, s21 op_sel_hi:[0,1]
	v_pk_mul_f16 v44, v44, s29 op_sel_hi:[0,1]
	v_add_f16_e32 v40, v42, v40
	v_fma_f16 v42, v61, s22, -v82
	v_pk_add_f16 v41, v43, v41
	v_pk_add_f16 v43, v49, v74 neg_lo:[0,1] neg_hi:[0,1]
	v_fma_f16 v83, v61, s22, v82
	v_add_f16_e32 v40, v42, v40
	v_sub_f16_e32 v42, v54, v44
	v_pk_add_f16 v41, v43, v41
	v_pk_add_f16 v43, v51, v75 neg_lo:[0,1] neg_hi:[0,1]
	s_mov_b32 s22, 0xffff
	v_mul_f16_e32 v65, 0xb3a8, v48
	v_pk_mul_f16 v48, v48, s30 op_sel_hi:[0,1]
	v_add_f16_e32 v42, v30, v42
	v_add_f16_e32 v30, v30, v16
	v_pk_add_f16 v41, v43, v41
	v_bfi_b32 v2, s22, v2, v54
	v_bfi_b32 v43, s22, v64, v44
	v_add_f16_e32 v30, v30, v17
	v_pk_add_f16 v2, v2, v43 neg_lo:[0,1] neg_hi:[0,1]
	v_bfi_b32 v3, s22, v3, v55
	v_bfi_b32 v43, s22, v65, v48
	v_mul_f16_e32 v66, 0x3b7b, v52
	v_pk_mul_f16 v52, v52, s33 op_sel_hi:[0,1]
	v_add_f16_e32 v30, v30, v18
	v_pk_add_f16 v2, v70, v2
	v_pk_add_f16 v3, v3, v43 neg_lo:[0,1] neg_hi:[0,1]
	v_add_f16_e32 v30, v30, v26
	v_pk_add_f16 v2, v3, v2
	v_bfi_b32 v3, s22, v36, v56
	v_bfi_b32 v36, s22, v66, v52
	v_mul_f16_e32 v67, 0x3770, v60
	v_pk_mul_f16 v60, v60, s34 op_sel_hi:[0,1]
	v_add_f16_e32 v30, v30, v27
	v_pk_add_f16 v3, v3, v36 neg_lo:[0,1] neg_hi:[0,1]
	v_add_f16_e32 v30, v30, v28
	v_pk_add_f16 v2, v2, v3
	v_bfi_b32 v3, s22, v37, v57
	v_bfi_b32 v36, s22, v67, v60
	v_mul_f16_e32 v68, 0xba95, v62
	v_pk_mul_f16 v62, v62, s35 op_sel_hi:[0,1]
	v_sub_f16_e32 v46, v55, v48
	v_add_f16_e32 v30, v30, v29
	v_pk_add_f16 v3, v3, v36 neg_lo:[0,1] neg_hi:[0,1]
	v_add_f16_e32 v42, v46, v42
	v_sub_f16_e32 v46, v56, v52
	v_add_f16_e32 v30, v30, v31
	v_pk_add_f16 v2, v3, v2
	v_bfi_b32 v3, s22, v38, v58
	v_bfi_b32 v36, s22, v68, v62
	v_add_f16_e32 v77, v83, v77
	v_mul_f16_e32 v83, 0xb94e, v63
	v_pk_mul_f16 v63, v63, s37 op_sel_hi:[0,1]
	v_add_f16_e32 v42, v42, v46
	v_sub_f16_e32 v46, v57, v60
	v_add_f16_e32 v30, v30, v32
	v_pk_add_f16 v3, v3, v36 neg_lo:[0,1] neg_hi:[0,1]
	v_add_f16_e32 v42, v46, v42
	v_sub_f16_e32 v46, v58, v62
	v_add_f16_e32 v30, v30, v34
	v_pk_add_f16 v2, v3, v2
	v_bfi_b32 v3, s22, v39, v59
	v_bfi_b32 v36, s22, v83, v63
	v_add_f16_e32 v42, v46, v42
	v_sub_f16_e32 v46, v59, v63
	v_add_f16_e32 v30, v33, v30
	v_pk_add_f16 v3, v3, v36 neg_lo:[0,1] neg_hi:[0,1]
	v_add_f16_e32 v42, v46, v42
	v_add_f16_e32 v30, v35, v30
	v_pk_add_f16 v2, v3, v2
	v_mad_u32_u24 v46, v10, 26, 0
	v_alignbit_b32 v38, v42, v2, 16
	v_pack_b32_f16 v37, v41, v2
	v_pack_b32_f16 v39, v40, v77
	v_bfi_b32 v36, s22, v30, v41
	ds_write_b128 v46, v[36:39]
	ds_write_b32 v46, v15 offset:16
	ds_write_b16 v46, v14 offset:20
	ds_write_b32 v46, v11 offset:22
.LBB0_13:
	s_or_b64 exec, exec, s[4:5]
	v_sub_f16_e32 v62, v16, v35
	s_mov_b32 s4, 0xbbf1b770
	v_add_f16_e32 v51, v1, v24
	v_sub_f16_e32 v61, v17, v33
	s_mov_b32 s22, 0x2fb73b15
	v_pk_mul_f16 v2, v62, s4 op_sel_hi:[0,1]
	s_mov_b32 s4, 0xb3a8ba95
	v_add_f16_e32 v52, v4, v23
	v_sub_f16_e32 v60, v18, v34
	v_pk_fma_f16 v3, v51, s22, v2 op_sel_hi:[0,1,1] neg_lo:[0,0,1] neg_hi:[0,0,1]
	s_mov_b32 s23, 0xbbc4388b
	v_pk_mul_f16 v34, v61, s4 op_sel_hi:[0,1]
	s_mov_b32 s4, 0x3b7bbbf1
	v_add_f16_e32 v53, v5, v25
	v_sub_f16_e32 v59, v26, v32
	v_pk_add_f16 v3, v0, v3 op_sel_hi:[0,1]
	v_pk_fma_f16 v16, v52, s23, v34 op_sel_hi:[0,1,1] neg_lo:[0,0,1] neg_hi:[0,0,1]
	s_mov_b32 s24, 0xb5ac2fb7
	v_pk_mul_f16 v35, v60, s4 op_sel_hi:[0,1]
	s_mov_b32 s4, 0x3770bb7b
	v_add_f16_e32 v54, v6, v22
	v_sub_f16_e32 v58, v27, v31
	v_pk_add_f16 v3, v16, v3
	v_pk_fma_f16 v16, v53, s24, v35 op_sel_hi:[0,1,1] neg_lo:[0,0,1] neg_hi:[0,0,1]
	s_mov_b32 s25, 0x3b15b5ac
	v_pk_mul_f16 v36, v59, s4 op_sel_hi:[0,1]
	s_mov_b32 s4, 0xba95b94e
	v_add_f16_e32 v55, v7, v21
	v_sub_f16_e32 v57, v28, v29
	v_pk_add_f16 v3, v3, v16
	v_pk_fma_f16 v16, v54, s25, v36 op_sel_hi:[0,1,1] neg_lo:[0,0,1] neg_hi:[0,0,1]
	s_mov_b32 s26, 0x388bb9fd
	v_pk_mul_f16 v37, v58, s4 op_sel_hi:[0,1]
	s_mov_b32 s4, 0xb94eb3a8
	v_add_f16_e32 v56, v19, v20
	v_pk_add_f16 v3, v16, v3
	v_pk_fma_f16 v16, v55, s26, v37 op_sel_hi:[0,1,1] neg_lo:[0,0,1] neg_hi:[0,0,1]
	s_mov_b32 s27, 0xb9fdbbc4
	v_pk_mul_f16 v38, v57, s4 op_sel_hi:[0,1]
	v_pk_add_f16 v3, v16, v3
	v_pk_fma_f16 v16, v56, s27, v38 op_sel_hi:[0,1,1] neg_lo:[0,0,1] neg_hi:[0,0,1]
	v_pk_mul_f16 v44, v62, s19 op_sel_hi:[0,1]
	v_pk_add_f16 v16, v16, v3
	v_pk_fma_f16 v3, v51, s11, v44 op_sel_hi:[0,1,1] neg_lo:[0,0,1] neg_hi:[0,0,1]
	v_pk_mul_f16 v43, v61, s20 op_sel_hi:[0,1]
	v_pk_add_f16 v3, v0, v3 op_sel_hi:[0,1]
	v_pk_fma_f16 v17, v52, s13, v43 op_sel_hi:[0,1,1] neg_lo:[0,0,1] neg_hi:[0,0,1]
	v_pk_mul_f16 v39, v60, s21 op_sel_hi:[0,1]
	s_mov_b32 s4, 0x394ebbf1
	v_pk_add_f16 v3, v17, v3
	v_pk_fma_f16 v17, v53, s18, v39 op_sel_hi:[0,1,1] neg_lo:[0,0,1] neg_hi:[0,0,1]
	v_pk_mul_f16 v40, v59, s4 op_sel_hi:[0,1]
	s_mov_b32 s4, 0x3bf133a8
	v_pk_add_f16 v3, v3, v17
	;; [unrolled: 4-line block ×4, first 2 shown]
	v_pk_fma_f16 v17, v56, s10, v42 op_sel_hi:[0,1,1] neg_lo:[0,0,1] neg_hi:[0,0,1]
	s_mov_b32 s19, 0xbbc4b9fd
	v_pk_mul_f16 v45, v62, s4 op_sel_hi:[0,1]
	s_mov_b32 s4, 0x37703bf1
	v_pk_add_f16 v17, v17, v3
	s_mov_b32 s20, 0x3b152fb7
	v_pk_mul_f16 v46, v61, s4 op_sel_hi:[0,1]
	s_mov_b32 s4, 0xb94eba95
	v_pk_fma_f16 v3, v51, s19, v45 op_sel_hi:[0,1,1] neg_lo:[0,0,1] neg_hi:[0,0,1]
	s_mov_b32 s21, 0xb9fd388b
	v_pk_mul_f16 v47, v60, s4 op_sel_hi:[0,1]
	s_mov_b32 s4, 0x3a9533a8
	v_pk_add_f16 v3, v0, v3 op_sel_hi:[0,1]
	v_pk_fma_f16 v18, v52, s20, v46 op_sel_hi:[0,1,1] neg_lo:[0,0,1] neg_hi:[0,0,1]
	s_mov_b32 s28, 0x388bbbc4
	v_pk_mul_f16 v48, v59, s4 op_sel_hi:[0,1]
	s_mov_b32 s4, 0xbb7b3770
	v_pk_add_f16 v3, v18, v3
	v_pk_fma_f16 v18, v53, s21, v47 op_sel_hi:[0,1,1] neg_lo:[0,0,1] neg_hi:[0,0,1]
	s_mov_b32 s29, 0xb5ac3b15
	v_pk_mul_f16 v49, v58, s4 op_sel_hi:[0,1]
	v_pk_add_f16 v3, v3, v18
	v_pk_fma_f16 v18, v54, s28, v48 op_sel_hi:[0,1,1] neg_lo:[0,0,1] neg_hi:[0,0,1]
	v_pk_add_f16 v3, v18, v3
	v_pk_fma_f16 v18, v55, s29, v49 op_sel_hi:[0,1,1] neg_lo:[0,0,1] neg_hi:[0,0,1]
	v_pk_add_f16 v18, v18, v3
	v_lshl_add_u32 v3, v10, 1, 0
	s_waitcnt lgkmcnt(0)
	s_barrier
	ds_read_u16 v28, v3
	ds_read_u16 v30, v3 offset:2548
	ds_read_u16 v31, v3 offset:2184
	;; [unrolled: 1-line block ×7, first 2 shown]
	s_mov_b32 s4, 0x3bf1bb7b
	s_mov_b32 s30, 0x2fb7b5ac
	v_pk_mul_f16 v50, v57, s4 op_sel_hi:[0,1]
	v_pk_fma_f16 v63, v56, s30, v50 op_sel_hi:[0,1,1] neg_lo:[0,0,1] neg_hi:[0,0,1]
	v_pk_add_f16 v18, v63, v18
	s_waitcnt lgkmcnt(0)
	s_barrier
	s_and_saveexec_b64 s[4:5], s[0:1]
	s_cbranch_execz .LBB0_15
; %bb.14:
	v_pack_b32_f16 v62, v62, v62
	s_mov_b32 s1, 0xba95b770
	v_pack_b32_f16 v63, v51, v51
	v_perm_b32 v65, v0, v0, s15
	v_pack_b32_f16 v61, v61, v61
	v_add_f16_e32 v0, v0, v1
	s_mov_b32 s0, 0x388b3b15
	v_pk_mul_f16 v1, v62, s1
	s_mov_b32 s1, 0xbb7bba95
	v_pack_b32_f16 v66, v52, v52
	v_add_f16_e32 v0, v0, v4
	v_pk_fma_f16 v1, v63, s0, v1
	s_mov_b32 s0, 0xb5ac388b
	v_pk_mul_f16 v4, v61, s1
	v_pack_b32_f16 v60, v60, v60
	v_pk_add_f16 v1, v65, v1
	v_pk_fma_f16 v4, v66, s0, v4
	s_mov_b32 s1, 0xb3a8bbf1
	v_pack_b32_f16 v68, v53, v53
	v_pk_add_f16 v1, v4, v1
	s_mov_b32 s0, 0xbbc42fb7
	v_pk_mul_f16 v4, v60, s1
	v_pack_b32_f16 v59, v59, v59
	v_pk_fma_f16 v4, v68, s0, v4
	s_mov_b32 s1, 0x394ebb7b
	v_pack_b32_f16 v70, v54, v54
	v_pk_add_f16 v1, v1, v4
	s_mov_b32 s0, 0xb9fdb5ac
	v_pk_mul_f16 v4, v59, s1
	v_pack_b32_f16 v58, v58, v58
	v_pk_fma_f16 v4, v70, s0, v4
	s_mov_b32 s1, 0x3bf1b94e
	v_pack_b32_f16 v72, v55, v55
	v_pk_add_f16 v1, v4, v1
	s_mov_b32 s0, 0x2fb7b9fd
	v_pk_mul_f16 v4, v58, s1
	v_pack_b32_f16 v57, v57, v57
	v_pk_fma_f16 v4, v72, s0, v4
	s_mov_b32 s1, 0x3770b3a8
	v_pack_b32_f16 v74, v56, v56
	v_pk_add_f16 v1, v4, v1
	s_mov_b32 s0, 0x3b15bbc4
	v_pk_mul_f16 v4, v57, s1
	v_pk_mul_f16 v64, v51, s22 op_sel_hi:[0,1]
	v_pk_mul_f16 v76, v51, s11 op_sel_hi:[0,1]
	v_pk_fma_f16 v4, v74, s0, v4
	v_pk_mul_f16 v67, v52, s23 op_sel_hi:[0,1]
	v_pk_mul_f16 v77, v52, s13 op_sel_hi:[0,1]
	v_pk_add_f16 v4, v4, v1
	v_alignbit_b32 v1, v76, v64, 16
	v_alignbit_b32 v2, v44, v2, 16
	v_add_f16_e32 v0, v0, v5
	v_pk_add_f16 v1, v1, v2
	v_alignbit_b32 v2, v77, v67, 16
	v_alignbit_b32 v5, v43, v34, 16
	v_pk_mul_f16 v69, v53, s24 op_sel_hi:[0,1]
	v_pk_mul_f16 v78, v53, s18 op_sel_hi:[0,1]
	v_pk_add_f16 v1, v65, v1
	v_pk_add_f16 v2, v2, v5
	v_alignbit_b32 v5, v39, v35, 16
	v_pk_add_f16 v1, v2, v1
	v_alignbit_b32 v2, v78, v69, 16
	v_pk_mul_f16 v71, v54, s25 op_sel_hi:[0,1]
	v_pk_mul_f16 v79, v54, s14 op_sel_hi:[0,1]
	v_pk_add_f16 v2, v2, v5
	v_alignbit_b32 v5, v40, v36, 16
	v_pk_add_f16 v1, v1, v2
	v_alignbit_b32 v2, v79, v71, 16
	v_pk_mul_f16 v73, v55, s26 op_sel_hi:[0,1]
	v_pk_mul_f16 v80, v55, s12 op_sel_hi:[0,1]
	;; [unrolled: 6-line block ×3, first 2 shown]
	v_pk_add_f16 v2, v2, v5
	v_add_f16_e32 v0, v0, v6
	v_pk_add_f16 v1, v2, v1
	v_alignbit_b32 v2, v81, v75, 16
	v_alignbit_b32 v5, v42, v38, 16
	v_pk_mul_f16 v51, v51, s19 op_sel_hi:[0,1]
	v_add_f16_e32 v0, v0, v7
	v_pk_add_f16 v2, v2, v5
	v_pk_mul_f16 v52, v52, s20 op_sel_hi:[0,1]
	v_add_f16_e32 v0, v0, v19
	v_pk_add_f16 v5, v2, v1
	v_pk_add_f16 v1, v51, v45
	v_pk_mul_f16 v53, v53, s21 op_sel_hi:[0,1]
	v_add_f16_e32 v0, v0, v20
	v_pk_add_f16 v1, v65, v1
	;; [unrolled: 4-line block ×5, first 2 shown]
	v_pk_add_f16 v2, v55, v49
	v_add_f16_e32 v0, v23, v0
	v_pk_add_f16 v1, v2, v1
	v_pk_add_f16 v2, v56, v50
	v_add_f16_e32 v0, v24, v0
	v_pk_add_f16 v6, v2, v1
	v_mad_u32_u24 v2, v10, 24, v3
	s_mov_b32 s0, 0xffff
	ds_write_b16 v2, v0
	v_alignbit_b32 v7, v18, v18, 16
	v_bfi_b32 v0, s0, v17, v16
	v_alignbit_b32 v1, v16, v17, 16
	ds_write_b128 v2, v[4:7] offset:2
	ds_write_b64 v2, v[0:1] offset:18
.LBB0_15:
	s_or_b64 exec, exec, s[4:5]
	s_movk_i32 s0, 0x4f
	v_add_u32_e32 v7, 0xb6, v10
	v_mul_lo_u16_sdwa v0, v10, s0 dst_sel:DWORD dst_unused:UNUSED_PAD src0_sel:BYTE_0 src1_sel:DWORD
	s_movk_i32 s0, 0x4ec5
	v_mul_u32_u24_sdwa v1, v7, s0 dst_sel:DWORD dst_unused:UNUSED_PAD src0_sel:WORD_0 src1_sel:DWORD
	v_lshrrev_b16_e32 v19, 10, v0
	v_lshrrev_b32_e32 v21, 18, v1
	v_mul_lo_u16_e32 v0, 13, v19
	v_mul_lo_u16_e32 v4, 13, v21
	v_sub_u16_e32 v20, v10, v0
	v_mov_b32_e32 v0, 3
	v_sub_u16_e32 v22, v7, v4
	v_mul_u32_u24_sdwa v0, v20, v0 dst_sel:DWORD dst_unused:UNUSED_PAD src0_sel:BYTE_0 src1_sel:DWORD
	v_mul_u32_u24_e32 v4, 3, v22
	v_lshlrev_b32_e32 v0, 2, v0
	v_lshlrev_b32_e32 v4, 2, v4
	s_load_dwordx2 s[2:3], s[2:3], 0x0
	s_waitcnt lgkmcnt(0)
	s_barrier
	global_load_dwordx3 v[0:2], v0, s[8:9]
	v_mov_b32_e32 v37, 1
	global_load_dwordx3 v[4:6], v4, s[8:9]
	ds_read_u16 v25, v3
	ds_read_u16 v23, v3 offset:2548
	ds_read_u16 v24, v3 offset:2184
	;; [unrolled: 1-line block ×7, first 2 shown]
	v_mul_u32_u24_e32 v19, 0x68, v19
	v_mul_u32_u24_e32 v21, 0x68, v21
	v_lshlrev_b32_sdwa v20, v37, v20 dst_sel:DWORD dst_unused:UNUSED_PAD src0_sel:DWORD src1_sel:BYTE_0
	v_lshlrev_b32_e32 v22, 1, v22
	v_add3_u32 v38, 0, v19, v20
	v_add3_u32 v37, 0, v21, v22
	s_waitcnt lgkmcnt(0)
	s_barrier
	v_cmp_gt_u32_e64 s[0:1], 26, v10
	s_waitcnt vmcnt(1)
	v_mul_f16_sdwa v19, v40, v0 dst_sel:DWORD dst_unused:UNUSED_PAD src0_sel:DWORD src1_sel:WORD_1
	v_mul_f16_sdwa v20, v33, v0 dst_sel:DWORD dst_unused:UNUSED_PAD src0_sel:DWORD src1_sel:WORD_1
	;; [unrolled: 1-line block ×5, first 2 shown]
	s_waitcnt vmcnt(0)
	v_mul_f16_sdwa v42, v39, v4 dst_sel:DWORD dst_unused:UNUSED_PAD src0_sel:DWORD src1_sel:WORD_1
	v_mul_f16_sdwa v43, v32, v4 dst_sel:DWORD dst_unused:UNUSED_PAD src0_sel:DWORD src1_sel:WORD_1
	;; [unrolled: 1-line block ×5, first 2 shown]
	v_fma_f16 v19, v33, v0, -v19
	v_fma_f16 v33, v40, v0, v20
	v_fma_f16 v20, v27, v1, -v21
	v_fma_f16 v21, v31, v2, -v22
	v_fma_f16 v2, v24, v2, v41
	v_fma_f16 v22, v32, v4, -v42
	v_fma_f16 v0, v39, v4, v43
	v_fma_f16 v4, v26, v5, -v44
	v_fma_f16 v24, v30, v6, -v45
	v_fma_f16 v6, v23, v6, v46
	v_sub_f16_e32 v4, v29, v4
	v_sub_f16_e32 v30, v22, v24
	;; [unrolled: 1-line block ×6, first 2 shown]
	v_fma_f16 v23, v29, 2.0, -v4
	v_fma_f16 v22, v22, 2.0, -v30
	;; [unrolled: 1-line block ×4, first 2 shown]
	v_sub_f16_e32 v21, v20, v39
	v_sub_f16_e32 v2, v4, v32
	;; [unrolled: 1-line block ×4, first 2 shown]
	v_fma_f16 v20, v20, 2.0, -v21
	v_fma_f16 v4, v4, 2.0, -v2
	ds_write_b16 v38, v21 offset:78
	v_fma_f16 v21, v23, 2.0, -v22
	v_fma_f16 v6, v6, 2.0, -v19
	ds_write_b16 v38, v20 offset:26
	ds_write_b16 v38, v19 offset:52
	ds_write_b16 v38, v6
	ds_write_b16 v37, v21
	ds_write_b16 v37, v4 offset:26
	ds_write_b16 v37, v22 offset:52
	;; [unrolled: 1-line block ×3, first 2 shown]
	s_waitcnt lgkmcnt(0)
	s_barrier
	ds_read_u16 v4, v3
	ds_read_u16 v24, v3 offset:416
	ds_read_u16 v23, v3 offset:832
	;; [unrolled: 1-line block ×6, first 2 shown]
                                        ; implicit-def: $vgpr6
	s_and_saveexec_b64 s[4:5], s[0:1]
	s_cbranch_execz .LBB0_17
; %bb.16:
	ds_read_u16 v2, v3 offset:364
	ds_read_u16 v11, v3 offset:780
	;; [unrolled: 1-line block ×7, first 2 shown]
	s_mov_b32 s10, 0x5040100
	s_waitcnt lgkmcnt(4)
	v_perm_b32 v15, v15, v11, s10
	s_waitcnt lgkmcnt(1)
	v_perm_b32 v11, v29, v28, s10
.LBB0_17:
	s_or_b64 exec, exec, s[4:5]
	v_mul_f16_sdwa v27, v27, v1 dst_sel:DWORD dst_unused:UNUSED_PAD src0_sel:DWORD src1_sel:WORD_1
	v_mul_f16_sdwa v26, v26, v5 dst_sel:DWORD dst_unused:UNUSED_PAD src0_sel:DWORD src1_sel:WORD_1
	v_fma_f16 v1, v36, v1, v27
	v_fma_f16 v5, v35, v5, v26
	v_sub_f16_e32 v1, v25, v1
	v_sub_f16_e32 v5, v34, v5
	v_fma_f16 v25, v25, 2.0, -v1
	v_fma_f16 v26, v33, 2.0, -v39
	;; [unrolled: 1-line block ×4, first 2 shown]
	v_sub_f16_e32 v26, v25, v26
	v_add_f16_e32 v27, v1, v31
	v_sub_f16_e32 v29, v28, v0
	v_add_f16_e32 v0, v5, v30
	v_fma_f16 v25, v25, 2.0, -v26
	v_fma_f16 v1, v1, 2.0, -v27
	;; [unrolled: 1-line block ×4, first 2 shown]
	s_waitcnt lgkmcnt(0)
	s_barrier
	ds_write_b16 v38, v25
	ds_write_b16 v38, v1 offset:26
	ds_write_b16 v38, v26 offset:52
	;; [unrolled: 1-line block ×3, first 2 shown]
	ds_write_b16 v37, v28
	ds_write_b16 v37, v5 offset:26
	ds_write_b16 v37, v29 offset:52
	ds_write_b16 v37, v0 offset:78
	s_waitcnt lgkmcnt(0)
	s_barrier
	ds_read_u16 v1, v3
	ds_read_u16 v30, v3 offset:416
	ds_read_u16 v29, v3 offset:832
	;; [unrolled: 1-line block ×6, first 2 shown]
                                        ; implicit-def: $vgpr25
	s_and_saveexec_b64 s[4:5], s[0:1]
	s_cbranch_execz .LBB0_19
; %bb.18:
	ds_read_u16 v0, v3 offset:364
	ds_read_u16 v18, v3 offset:780
	;; [unrolled: 1-line block ×7, first 2 shown]
	s_mov_b32 s10, 0x5040100
	s_waitcnt lgkmcnt(2)
	v_perm_b32 v17, v17, v16, s10
	s_waitcnt lgkmcnt(1)
	v_perm_b32 v16, v31, v32, s10
.LBB0_19:
	s_or_b64 exec, exec, s[4:5]
	s_movk_i32 s4, 0x4f
	v_mul_lo_u16_sdwa v31, v10, s4 dst_sel:DWORD dst_unused:UNUSED_PAD src0_sel:BYTE_0 src1_sel:DWORD
	v_lshrrev_b16_e32 v44, 12, v31
	s_movk_i32 s4, 0x4ec5
	v_mul_lo_u16_e32 v31, 52, v44
	v_mul_u32_u24_sdwa v36, v7, s4 dst_sel:DWORD dst_unused:UNUSED_PAD src0_sel:WORD_0 src1_sel:DWORD
	v_sub_u16_e32 v45, v10, v31
	v_mov_b32_e32 v31, 6
	v_lshrrev_b32_e32 v36, 20, v36
	v_mul_u32_u24_sdwa v31, v45, v31 dst_sel:DWORD dst_unused:UNUSED_PAD src0_sel:BYTE_0 src1_sel:DWORD
	v_mul_lo_u16_e32 v36, 52, v36
	v_lshlrev_b32_e32 v31, 2, v31
	v_sub_u16_e32 v46, v7, v36
	global_load_dwordx4 v[32:35], v31, s[8:9] offset:156
	global_load_dwordx2 v[40:41], v31, s[8:9] offset:172
	v_mul_u32_u24_e32 v31, 6, v46
	v_lshlrev_b32_e32 v31, 2, v31
	global_load_dwordx4 v[36:39], v31, s[8:9] offset:156
	global_load_dwordx2 v[42:43], v31, s[8:9] offset:172
	v_lshrrev_b32_e32 v47, 16, v15
	v_lshrrev_b32_e32 v48, 16, v16
	;; [unrolled: 1-line block ×4, first 2 shown]
	s_movk_i32 s11, 0x2b26
	s_mov_b32 s12, 0xbcab
	s_movk_i32 s13, 0x39e0
	s_mov_b32 s14, 0xb9e0
	s_movk_i32 s15, 0x3574
	s_movk_i32 s10, 0x3b00
	s_mov_b32 s19, 0xb574
	s_movk_i32 s18, 0x370e
	s_waitcnt lgkmcnt(0)
	s_barrier
	s_waitcnt vmcnt(3)
	v_mul_f16_sdwa v31, v30, v32 dst_sel:DWORD dst_unused:UNUSED_PAD src0_sel:DWORD src1_sel:WORD_1
	v_mul_f16_sdwa v52, v29, v33 dst_sel:DWORD dst_unused:UNUSED_PAD src0_sel:DWORD src1_sel:WORD_1
	;; [unrolled: 1-line block ×5, first 2 shown]
	s_waitcnt vmcnt(2)
	v_mul_f16_sdwa v58, v26, v40 dst_sel:DWORD dst_unused:UNUSED_PAD src0_sel:DWORD src1_sel:WORD_1
	v_mul_f16_sdwa v60, v5, v41 dst_sel:DWORD dst_unused:UNUSED_PAD src0_sel:DWORD src1_sel:WORD_1
	;; [unrolled: 1-line block ×7, first 2 shown]
	s_waitcnt vmcnt(1)
	v_mul_f16_sdwa v62, v18, v36 dst_sel:DWORD dst_unused:UNUSED_PAD src0_sel:DWORD src1_sel:WORD_1
	v_mul_f16_sdwa v64, v17, v37 dst_sel:DWORD dst_unused:UNUSED_PAD src0_sel:DWORD src1_sel:WORD_1
	;; [unrolled: 1-line block ×3, first 2 shown]
	s_waitcnt vmcnt(0)
	v_mul_f16_sdwa v73, v6, v43 dst_sel:DWORD dst_unused:UNUSED_PAD src0_sel:DWORD src1_sel:WORD_1
	v_fma_f16 v24, v24, v32, -v31
	v_fma_f16 v23, v23, v33, -v52
	v_fma_f16 v31, v29, v33, v53
	v_fma_f16 v29, v22, v34, -v54
	v_fma_f16 v28, v28, v34, v55
	v_fma_f16 v33, v20, v40, -v58
	v_fma_f16 v34, v19, v41, -v60
	v_mul_f16_sdwa v63, v15, v36 dst_sel:DWORD dst_unused:UNUSED_PAD src0_sel:DWORD src1_sel:WORD_1
	v_mul_f16_sdwa v66, v48, v38 dst_sel:DWORD dst_unused:UNUSED_PAD src0_sel:DWORD src1_sel:WORD_1
	;; [unrolled: 1-line block ×6, first 2 shown]
	v_fma_f16 v30, v30, v32, v51
	v_fma_f16 v32, v21, v35, -v56
	v_fma_f16 v27, v27, v35, v57
	v_fma_f16 v26, v26, v40, v59
	;; [unrolled: 1-line block ×3, first 2 shown]
	v_fma_f16 v5, v15, v36, -v62
	v_fma_f16 v15, v47, v37, -v64
	v_fma_f16 v17, v17, v37, v65
	v_fma_f16 v22, v25, v43, v73
	v_add_f16_e32 v25, v24, v34
	v_add_f16_e32 v37, v23, v33
	v_mul_f16_sdwa v70, v16, v42 dst_sel:DWORD dst_unused:UNUSED_PAD src0_sel:DWORD src1_sel:WORD_1
	v_mul_f16_sdwa v71, v50, v42 dst_sel:DWORD dst_unused:UNUSED_PAD src0_sel:DWORD src1_sel:WORD_1
	v_fma_f16 v14, v14, v38, -v66
	v_fma_f16 v19, v48, v38, v67
	v_fma_f16 v11, v11, v39, -v68
	v_fma_f16 v20, v49, v39, v69
	v_sub_f16_e32 v38, v31, v26
	v_add_f16_e32 v39, v29, v32
	v_sub_f16_e32 v40, v27, v28
	v_add_f16_e32 v41, v37, v25
	v_fma_f16 v18, v18, v36, v63
	v_fma_f16 v21, v50, v42, -v70
	v_fma_f16 v16, v16, v42, v71
	v_fma_f16 v6, v6, v43, -v72
	v_sub_f16_e32 v36, v30, v35
	v_sub_f16_e32 v42, v37, v25
	;; [unrolled: 1-line block ×4, first 2 shown]
	v_add_f16_e32 v43, v40, v38
	v_sub_f16_e32 v47, v40, v38
	v_add_f16_e32 v39, v39, v41
	v_sub_f16_e32 v40, v36, v40
	v_sub_f16_e32 v38, v38, v36
	v_add_f16_e32 v36, v43, v36
	v_mul_f16_e32 v25, 0x3a52, v25
	v_mul_f16_e32 v41, 0x2b26, v37
	;; [unrolled: 1-line block ×3, first 2 shown]
	v_add_f16_e32 v4, v4, v39
	v_mul_f16_e32 v47, 0x3b00, v38
	v_fma_f16 v39, v39, s12, v4
	v_fma_f16 v37, v37, s11, v25
	v_fma_f16 v41, v42, s13, -v41
	v_fma_f16 v25, v42, s14, -v25
	v_fma_f16 v42, v40, s15, v43
	v_fma_f16 v38, v38, s10, -v43
	v_fma_f16 v40, v40, s19, -v47
	v_add_f16_e32 v37, v37, v39
	v_add_f16_e32 v41, v41, v39
	;; [unrolled: 1-line block ×3, first 2 shown]
	v_fma_f16 v39, v36, s18, v42
	v_fma_f16 v38, v36, s18, v38
	;; [unrolled: 1-line block ×3, first 2 shown]
	v_add_f16_e32 v40, v39, v37
	v_sub_f16_e32 v37, v37, v39
	v_mov_b32_e32 v39, 1
	v_add_f16_e32 v42, v36, v25
	v_sub_f16_e32 v25, v25, v36
	v_mul_u32_u24_e32 v36, 0x2d8, v44
	v_lshlrev_b32_sdwa v39, v39, v45 dst_sel:DWORD dst_unused:UNUSED_PAD src0_sel:DWORD src1_sel:BYTE_0
	v_add3_u32 v36, 0, v36, v39
	v_sub_f16_e32 v43, v41, v38
	v_add_f16_e32 v38, v38, v41
	ds_write_b16 v36, v4
	ds_write_b16 v36, v40 offset:104
	ds_write_b16 v36, v42 offset:208
	ds_write_b16 v36, v43 offset:312
	ds_write_b16 v36, v38 offset:416
	ds_write_b16 v36, v25 offset:520
	ds_write_b16 v36, v37 offset:624
	v_lshl_add_u32 v4, v46, 1, 0
	s_and_saveexec_b64 s[4:5], s[0:1]
	s_cbranch_execz .LBB0_21
; %bb.20:
	v_add_f16_e32 v25, v5, v6
	v_add_f16_e32 v39, v15, v21
	;; [unrolled: 1-line block ×4, first 2 shown]
	v_sub_f16_e32 v38, v25, v37
	v_sub_f16_e32 v40, v37, v39
	v_add_f16_e32 v37, v37, v42
	v_sub_f16_e32 v42, v18, v22
	v_sub_f16_e32 v43, v20, v19
	;; [unrolled: 1-line block ×5, first 2 shown]
	v_add_f16_e32 v43, v43, v45
	v_sub_f16_e32 v25, v39, v25
	v_sub_f16_e32 v39, v45, v42
	v_mul_f16_e32 v38, 0x3a52, v38
	v_mul_f16_e32 v41, 0x2b26, v40
	v_add_f16_e32 v2, v2, v37
	v_mul_f16_e32 v46, 0xb846, v46
	v_add_f16_e32 v43, v43, v42
	v_mul_f16_e32 v42, 0x3b00, v39
	v_fma_f16 v40, v40, s11, v38
	v_fma_f16 v37, v37, s12, v2
	;; [unrolled: 1-line block ×3, first 2 shown]
	v_fma_f16 v38, v25, s14, -v38
	v_fma_f16 v42, v44, s19, -v42
	v_fma_f16 v39, v39, s10, -v46
	v_fma_f16 v25, v25, s13, -v41
	v_add_f16_e32 v40, v40, v37
	v_fma_f16 v47, v43, s18, v47
	v_add_f16_e32 v38, v38, v37
	v_fma_f16 v42, v43, s18, v42
	v_fma_f16 v39, v43, s18, v39
	v_add_f16_e32 v25, v25, v37
	v_sub_f16_e32 v48, v40, v47
	v_sub_f16_e32 v44, v38, v42
	v_add_f16_e32 v37, v39, v25
	v_sub_f16_e32 v25, v25, v39
	v_add_f16_e32 v38, v42, v38
	v_add_f16_e32 v39, v47, v40
	ds_write_b16 v4, v2 offset:2184
	ds_write_b16 v4, v39 offset:2288
	;; [unrolled: 1-line block ×7, first 2 shown]
.LBB0_21:
	s_or_b64 exec, exec, s[4:5]
	v_add_f16_e32 v2, v30, v35
	v_add_f16_e32 v25, v31, v26
	v_sub_f16_e32 v24, v24, v34
	v_sub_f16_e32 v23, v23, v33
	v_add_f16_e32 v26, v28, v27
	v_sub_f16_e32 v27, v32, v29
	v_add_f16_e32 v28, v25, v2
	v_sub_f16_e32 v29, v25, v2
	v_sub_f16_e32 v2, v2, v26
	;; [unrolled: 1-line block ×3, first 2 shown]
	v_add_f16_e32 v30, v27, v23
	v_sub_f16_e32 v31, v27, v23
	v_sub_f16_e32 v23, v23, v24
	v_add_f16_e32 v26, v26, v28
	v_sub_f16_e32 v27, v24, v27
	v_add_f16_e32 v24, v30, v24
	v_add_f16_e32 v1, v1, v26
	v_mul_f16_e32 v2, 0x3a52, v2
	v_mul_f16_e32 v28, 0x2b26, v25
	;; [unrolled: 1-line block ×4, first 2 shown]
	v_fma_f16 v26, v26, s12, v1
	v_fma_f16 v25, v25, s11, v2
	v_fma_f16 v28, v29, s13, -v28
	v_fma_f16 v2, v29, s14, -v2
	v_fma_f16 v29, v27, s15, v30
	v_fma_f16 v23, v23, s10, -v30
	v_fma_f16 v27, v27, s19, -v31
	v_add_f16_e32 v25, v25, v26
	v_add_f16_e32 v28, v28, v26
	;; [unrolled: 1-line block ×3, first 2 shown]
	v_fma_f16 v26, v24, s18, v29
	v_fma_f16 v23, v24, s18, v23
	;; [unrolled: 1-line block ×3, first 2 shown]
	v_sub_f16_e32 v30, v25, v26
	v_sub_f16_e32 v31, v2, v24
	v_add_f16_e32 v32, v23, v28
	v_sub_f16_e32 v33, v28, v23
	v_add_f16_e32 v34, v24, v2
	v_add_f16_e32 v35, v26, v25
	s_waitcnt lgkmcnt(0)
	s_barrier
	ds_read_u16 v2, v3
	ds_read_u16 v23, v3 offset:364
	ds_read_u16 v24, v3 offset:728
	;; [unrolled: 1-line block ×7, first 2 shown]
	s_waitcnt lgkmcnt(0)
	s_barrier
	ds_write_b16 v36, v1
	ds_write_b16 v36, v30 offset:104
	ds_write_b16 v36, v31 offset:208
	;; [unrolled: 1-line block ×6, first 2 shown]
	s_and_saveexec_b64 s[4:5], s[0:1]
	s_cbranch_execz .LBB0_23
; %bb.22:
	v_add_f16_e32 v1, v18, v22
	v_sub_f16_e32 v5, v5, v6
	v_add_f16_e32 v6, v17, v16
	v_add_f16_e32 v16, v19, v20
	v_sub_f16_e32 v11, v11, v14
	v_add_f16_e32 v14, v6, v1
	v_sub_f16_e32 v17, v6, v1
	v_sub_f16_e32 v1, v1, v16
	;; [unrolled: 1-line block ×3, first 2 shown]
	v_mul_f16_e32 v1, 0x3a52, v1
	s_movk_i32 s0, 0x2b26
	v_sub_f16_e32 v15, v15, v21
	v_add_f16_e32 v14, v16, v14
	v_mul_f16_e32 v16, 0x2b26, v6
	v_fma_f16 v6, v6, s0, v1
	s_movk_i32 s0, 0x39e0
	v_add_f16_e32 v18, v11, v15
	v_sub_f16_e32 v19, v11, v15
	v_fma_f16 v16, v17, s0, -v16
	s_mov_b32 s0, 0xb9e0
	v_sub_f16_e32 v11, v5, v11
	v_sub_f16_e32 v15, v15, v5
	v_add_f16_e32 v5, v18, v5
	v_mul_f16_e32 v18, 0xb846, v19
	v_fma_f16 v1, v17, s0, -v1
	s_movk_i32 s0, 0x3574
	v_add_f16_e32 v0, v0, v14
	s_movk_i32 s1, 0x3b00
	v_mul_f16_e32 v19, 0x3b00, v15
	s_mov_b32 s10, 0xbcab
	v_fma_f16 v17, v11, s0, v18
	s_mov_b32 s0, 0xb574
	v_fma_f16 v14, v14, s10, v0
	v_fma_f16 v15, v15, s1, -v18
	v_fma_f16 v11, v11, s0, -v19
	s_movk_i32 s0, 0x370e
	v_add_f16_e32 v6, v6, v14
	v_add_f16_e32 v16, v16, v14
	;; [unrolled: 1-line block ×3, first 2 shown]
	v_fma_f16 v14, v5, s0, v17
	v_fma_f16 v15, v5, s0, v15
	v_fma_f16 v5, v5, s0, v11
	v_sub_f16_e32 v11, v6, v14
	v_sub_f16_e32 v17, v1, v5
	v_add_f16_e32 v18, v15, v16
	v_sub_f16_e32 v15, v16, v15
	v_add_f16_e32 v1, v5, v1
	v_add_f16_e32 v5, v14, v6
	ds_write_b16 v4, v0 offset:2184
	ds_write_b16 v4, v11 offset:2288
	ds_write_b16 v4, v17 offset:2392
	ds_write_b16 v4, v18 offset:2496
	ds_write_b16 v4, v15 offset:2600
	ds_write_b16 v4, v1 offset:2704
	ds_write_b16 v4, v5 offset:2808
.LBB0_23:
	s_or_b64 exec, exec, s[4:5]
	v_mov_b32_e32 v11, 0
	v_lshl_add_u64 v[0:1], v[10:11], 2, s[8:9]
	s_waitcnt lgkmcnt(0)
	s_barrier
	global_load_dword v4, v[0:1], off offset:1404
	global_load_dword v5, v[0:1], off offset:2132
	ds_read_u16 v6, v3
	ds_read_u16 v11, v3 offset:364
	ds_read_u16 v14, v3 offset:728
	;; [unrolled: 1-line block ×7, first 2 shown]
	s_waitcnt lgkmcnt(0)
	s_barrier
	s_waitcnt vmcnt(1)
	v_mul_f16_sdwa v20, v18, v4 dst_sel:DWORD dst_unused:UNUSED_PAD src0_sel:DWORD src1_sel:WORD_1
	v_mul_f16_sdwa v21, v29, v4 dst_sel:DWORD dst_unused:UNUSED_PAD src0_sel:DWORD src1_sel:WORD_1
	s_waitcnt vmcnt(0)
	v_mul_f16_sdwa v22, v15, v5 dst_sel:DWORD dst_unused:UNUSED_PAD src0_sel:DWORD src1_sel:WORD_1
	v_mul_f16_sdwa v30, v28, v5 dst_sel:DWORD dst_unused:UNUSED_PAD src0_sel:DWORD src1_sel:WORD_1
	v_mul_f16_sdwa v31, v16, v4 dst_sel:DWORD dst_unused:UNUSED_PAD src0_sel:DWORD src1_sel:WORD_1
	v_mul_f16_sdwa v32, v26, v4 dst_sel:DWORD dst_unused:UNUSED_PAD src0_sel:DWORD src1_sel:WORD_1
	v_mul_f16_sdwa v33, v17, v5 dst_sel:DWORD dst_unused:UNUSED_PAD src0_sel:DWORD src1_sel:WORD_1
	v_mul_f16_sdwa v34, v27, v5 dst_sel:DWORD dst_unused:UNUSED_PAD src0_sel:DWORD src1_sel:WORD_1
	v_fma_f16 v20, v29, v4, -v20
	v_fma_f16 v18, v18, v4, v21
	v_fma_f16 v21, v28, v5, -v22
	v_fma_f16 v15, v15, v5, v30
	;; [unrolled: 2-line block ×4, first 2 shown]
	v_sub_f16_e32 v17, v2, v20
	v_sub_f16_e32 v18, v6, v18
	;; [unrolled: 1-line block ×8, first 2 shown]
	v_fma_f16 v2, v2, 2.0, -v17
	v_fma_f16 v27, v6, 2.0, -v18
	;; [unrolled: 1-line block ×7, first 2 shown]
	ds_write_b16 v3, v17 offset:728
	ds_write_b16 v3, v20 offset:1092
	;; [unrolled: 1-line block ×4, first 2 shown]
	ds_write_b16 v3, v2
	ds_write_b16 v3, v5 offset:364
	ds_write_b16 v3, v6 offset:1456
	;; [unrolled: 1-line block ×3, first 2 shown]
	s_waitcnt lgkmcnt(0)
	s_barrier
	ds_read_u16 v2, v3
	ds_read_u16 v4, v3 offset:364
	ds_read_u16 v5, v3 offset:728
	;; [unrolled: 1-line block ×7, first 2 shown]
	v_fma_f16 v19, v19, 2.0, -v26
	s_waitcnt lgkmcnt(0)
	s_barrier
	ds_write_b16 v3, v27
	ds_write_b16 v3, v18 offset:728
	ds_write_b16 v3, v23 offset:364
	;; [unrolled: 1-line block ×7, first 2 shown]
	s_waitcnt lgkmcnt(0)
	s_barrier
	s_and_saveexec_b64 s[0:1], vcc
	s_cbranch_execz .LBB0_25
; %bb.24:
	v_add_co_u32_e32 v18, vcc, 0x1000, v0
	v_mul_lo_u32 v20, s3, v12
	s_nop 0
	v_addc_co_u32_e32 v19, vcc, 0, v1, vcc
	global_load_dword v17, v[18:19], off offset:948
	global_load_dword v29, v[18:19], off offset:220
	;; [unrolled: 1-line block ×4, first 2 shown]
	v_mul_lo_u32 v21, s2, v13
	v_mad_u64_u32 v[0:1], s[0:1], s2, v12, 0
	v_add_u32_e32 v39, 0x2d8, v10
	ds_read_u16 v32, v3 offset:2548
	ds_read_u16 v33, v3 offset:2184
	;; [unrolled: 1-line block ×7, first 2 shown]
	ds_read_u16 v3, v3
	v_mad_u64_u32 v[12:13], s[0:1], s16, v10, 0
	v_mad_u64_u32 v[18:19], s[0:1], s16, v7, 0
	v_add3_u32 v1, v1, v21, v20
	v_mad_u64_u32 v[22:23], s[0:1], s16, v39, 0
	v_mov_b32_e32 v20, v13
	v_mov_b32_e32 v24, v19
	v_lshl_add_u64 v[0:1], v[0:1], 2, s[6:7]
	v_mov_b32_e32 v28, v23
	v_mad_u64_u32 v[20:21], s[0:1], s17, v10, v[20:21]
	v_mad_u64_u32 v[24:25], s[0:1], s17, v7, v[24:25]
	v_lshl_add_u64 v[0:1], v[8:9], 2, v[0:1]
	v_mov_b32_e32 v19, v24
	v_mov_b32_e32 v13, v20
	v_add_u32_e32 v40, 0x38e, v10
	v_mad_u64_u32 v[26:27], s[0:1], s16, v40, 0
	v_lshl_add_u64 v[12:13], v[12:13], 2, v[0:1]
	s_mov_b32 s3, 0x16816817
	s_movk_i32 s2, 0x2d8
	s_waitcnt vmcnt(3) lgkmcnt(7)
	v_mul_f16_sdwa v7, v32, v17 dst_sel:DWORD dst_unused:UNUSED_PAD src0_sel:DWORD src1_sel:WORD_1
	s_waitcnt vmcnt(2)
	v_mad_u64_u32 v[8:9], s[0:1], s17, v39, v[28:29]
	v_mov_b32_e32 v23, v8
	s_waitcnt lgkmcnt(6)
	v_mul_f16_sdwa v21, v33, v29 dst_sel:DWORD dst_unused:UNUSED_PAD src0_sel:DWORD src1_sel:WORD_1
	s_waitcnt vmcnt(0) lgkmcnt(4)
	v_mul_f16_sdwa v25, v35, v31 dst_sel:DWORD dst_unused:UNUSED_PAD src0_sel:DWORD src1_sel:WORD_1
	v_mul_f16_sdwa v28, v14, v31 dst_sel:DWORD dst_unused:UNUSED_PAD src0_sel:DWORD src1_sel:WORD_1
	v_lshl_add_u64 v[8:9], v[18:19], 2, v[0:1]
	v_lshl_add_u64 v[18:19], v[22:23], 2, v[0:1]
	v_mul_f16_sdwa v20, v16, v17 dst_sel:DWORD dst_unused:UNUSED_PAD src0_sel:DWORD src1_sel:WORD_1
	v_mul_f16_sdwa v22, v15, v29 dst_sel:DWORD dst_unused:UNUSED_PAD src0_sel:DWORD src1_sel:WORD_1
	;; [unrolled: 1-line block ×4, first 2 shown]
	v_fma_f16 v15, v15, v29, -v21
	v_fma_f16 v14, v14, v31, -v25
	v_fma_f16 v21, v31, v35, v28
	v_fma_f16 v7, v16, v17, -v7
	v_fma_f16 v16, v17, v32, v20
	;; [unrolled: 2-line block ×3, first 2 shown]
	v_sub_f16_e32 v14, v2, v14
	s_waitcnt lgkmcnt(0)
	v_sub_f16_e32 v21, v3, v21
	v_sub_f16_e32 v15, v5, v15
	;; [unrolled: 1-line block ×4, first 2 shown]
	v_fma_f16 v2, v2, 2.0, -v14
	v_fma_f16 v3, v3, 2.0, -v21
	;; [unrolled: 1-line block ×5, first 2 shown]
	v_pack_b32_f16 v2, v2, v3
	v_pack_b32_f16 v14, v14, v21
	;; [unrolled: 1-line block ×3, first 2 shown]
	global_store_dword v[12:13], v2, off
	global_store_dword v[18:19], v14, off
	;; [unrolled: 1-line block ×3, first 2 shown]
	v_mov_b32_e32 v2, v27
	v_mad_u64_u32 v[2:3], s[0:1], s17, v40, v[2:3]
	v_mov_b32_e32 v27, v2
	v_lshl_add_u64 v[2:3], v[26:27], 2, v[0:1]
	v_pack_b32_f16 v4, v11, v20
	global_store_dword v[2:3], v4, off
	v_add_u32_e32 v2, 0x16c, v10
	v_lshrrev_b32_e32 v3, 3, v2
	v_mul_hi_u32 v3, v3, s3
	v_lshrrev_b32_e32 v3, 3, v3
	v_mad_u32_u24 v8, v3, s2, v2
	v_mad_u64_u32 v[2:3], s[0:1], s16, v8, 0
	v_fma_f16 v17, v29, v33, v22
	v_mov_b32_e32 v4, v3
	v_sub_f16_e32 v17, v37, v17
	v_mad_u64_u32 v[4:5], s[0:1], s17, v8, v[4:5]
	v_fma_f16 v24, v37, 2.0, -v17
	v_mov_b32_e32 v3, v4
	v_lshl_add_u64 v[2:3], v[2:3], 2, v[0:1]
	v_pack_b32_f16 v4, v23, v24
	v_add_u32_e32 v5, 0x2d8, v8
	global_store_dword v[2:3], v4, off
	v_mad_u64_u32 v[2:3], s[0:1], s16, v5, 0
	v_mov_b32_e32 v4, v3
	v_mad_u64_u32 v[4:5], s[0:1], s17, v5, v[4:5]
	v_mov_b32_e32 v3, v4
	v_lshl_add_u64 v[2:3], v[2:3], 2, v[0:1]
	v_pack_b32_f16 v4, v15, v17
	global_store_dword v[2:3], v4, off
	v_add_u32_e32 v2, 0x222, v10
	v_lshrrev_b32_e32 v3, 3, v2
	v_mul_hi_u32 v3, v3, s3
	v_lshrrev_b32_e32 v3, 3, v3
	v_mad_u32_u24 v8, v3, s2, v2
	v_mad_u64_u32 v[2:3], s[0:1], s16, v8, 0
	v_mov_b32_e32 v4, v3
	v_sub_f16_e32 v7, v6, v7
	v_sub_f16_e32 v16, v36, v16
	v_mad_u64_u32 v[4:5], s[0:1], s17, v8, v[4:5]
	v_fma_f16 v6, v6, 2.0, -v7
	v_fma_f16 v22, v36, 2.0, -v16
	v_mov_b32_e32 v3, v4
	v_lshl_add_u64 v[2:3], v[2:3], 2, v[0:1]
	v_pack_b32_f16 v4, v6, v22
	v_add_u32_e32 v5, 0x2d8, v8
	global_store_dword v[2:3], v4, off
	v_mad_u64_u32 v[2:3], s[0:1], s16, v5, 0
	v_mov_b32_e32 v4, v3
	v_mad_u64_u32 v[4:5], s[0:1], s17, v5, v[4:5]
	v_mov_b32_e32 v3, v4
	v_lshl_add_u64 v[0:1], v[2:3], 2, v[0:1]
	v_pack_b32_f16 v2, v7, v16
	global_store_dword v[0:1], v2, off
.LBB0_25:
	s_endpgm
	.section	.rodata,"a",@progbits
	.p2align	6, 0x0
	.amdhsa_kernel fft_rtc_fwd_len1456_factors_13_4_7_2_2_wgs_182_tpt_182_halfLds_half_op_CI_CI_sbrr_dirReg
		.amdhsa_group_segment_fixed_size 0
		.amdhsa_private_segment_fixed_size 0
		.amdhsa_kernarg_size 104
		.amdhsa_user_sgpr_count 2
		.amdhsa_user_sgpr_dispatch_ptr 0
		.amdhsa_user_sgpr_queue_ptr 0
		.amdhsa_user_sgpr_kernarg_segment_ptr 1
		.amdhsa_user_sgpr_dispatch_id 0
		.amdhsa_user_sgpr_kernarg_preload_length 0
		.amdhsa_user_sgpr_kernarg_preload_offset 0
		.amdhsa_user_sgpr_private_segment_size 0
		.amdhsa_uses_dynamic_stack 0
		.amdhsa_enable_private_segment 0
		.amdhsa_system_sgpr_workgroup_id_x 1
		.amdhsa_system_sgpr_workgroup_id_y 0
		.amdhsa_system_sgpr_workgroup_id_z 0
		.amdhsa_system_sgpr_workgroup_info 0
		.amdhsa_system_vgpr_workitem_id 0
		.amdhsa_next_free_vgpr 84
		.amdhsa_next_free_sgpr 38
		.amdhsa_accum_offset 84
		.amdhsa_reserve_vcc 1
		.amdhsa_float_round_mode_32 0
		.amdhsa_float_round_mode_16_64 0
		.amdhsa_float_denorm_mode_32 3
		.amdhsa_float_denorm_mode_16_64 3
		.amdhsa_dx10_clamp 1
		.amdhsa_ieee_mode 1
		.amdhsa_fp16_overflow 0
		.amdhsa_tg_split 0
		.amdhsa_exception_fp_ieee_invalid_op 0
		.amdhsa_exception_fp_denorm_src 0
		.amdhsa_exception_fp_ieee_div_zero 0
		.amdhsa_exception_fp_ieee_overflow 0
		.amdhsa_exception_fp_ieee_underflow 0
		.amdhsa_exception_fp_ieee_inexact 0
		.amdhsa_exception_int_div_zero 0
	.end_amdhsa_kernel
	.text
.Lfunc_end0:
	.size	fft_rtc_fwd_len1456_factors_13_4_7_2_2_wgs_182_tpt_182_halfLds_half_op_CI_CI_sbrr_dirReg, .Lfunc_end0-fft_rtc_fwd_len1456_factors_13_4_7_2_2_wgs_182_tpt_182_halfLds_half_op_CI_CI_sbrr_dirReg
                                        ; -- End function
	.section	.AMDGPU.csdata,"",@progbits
; Kernel info:
; codeLenInByte = 9640
; NumSgprs: 44
; NumVgprs: 84
; NumAgprs: 0
; TotalNumVgprs: 84
; ScratchSize: 0
; MemoryBound: 0
; FloatMode: 240
; IeeeMode: 1
; LDSByteSize: 0 bytes/workgroup (compile time only)
; SGPRBlocks: 5
; VGPRBlocks: 10
; NumSGPRsForWavesPerEU: 44
; NumVGPRsForWavesPerEU: 84
; AccumOffset: 84
; Occupancy: 5
; WaveLimiterHint : 1
; COMPUTE_PGM_RSRC2:SCRATCH_EN: 0
; COMPUTE_PGM_RSRC2:USER_SGPR: 2
; COMPUTE_PGM_RSRC2:TRAP_HANDLER: 0
; COMPUTE_PGM_RSRC2:TGID_X_EN: 1
; COMPUTE_PGM_RSRC2:TGID_Y_EN: 0
; COMPUTE_PGM_RSRC2:TGID_Z_EN: 0
; COMPUTE_PGM_RSRC2:TIDIG_COMP_CNT: 0
; COMPUTE_PGM_RSRC3_GFX90A:ACCUM_OFFSET: 20
; COMPUTE_PGM_RSRC3_GFX90A:TG_SPLIT: 0
	.text
	.p2alignl 6, 3212836864
	.fill 256, 4, 3212836864
	.type	__hip_cuid_80941c818a82e7ee,@object ; @__hip_cuid_80941c818a82e7ee
	.section	.bss,"aw",@nobits
	.globl	__hip_cuid_80941c818a82e7ee
__hip_cuid_80941c818a82e7ee:
	.byte	0                               ; 0x0
	.size	__hip_cuid_80941c818a82e7ee, 1

	.ident	"AMD clang version 19.0.0git (https://github.com/RadeonOpenCompute/llvm-project roc-6.4.0 25133 c7fe45cf4b819c5991fe208aaa96edf142730f1d)"
	.section	".note.GNU-stack","",@progbits
	.addrsig
	.addrsig_sym __hip_cuid_80941c818a82e7ee
	.amdgpu_metadata
---
amdhsa.kernels:
  - .agpr_count:     0
    .args:
      - .actual_access:  read_only
        .address_space:  global
        .offset:         0
        .size:           8
        .value_kind:     global_buffer
      - .offset:         8
        .size:           8
        .value_kind:     by_value
      - .actual_access:  read_only
        .address_space:  global
        .offset:         16
        .size:           8
        .value_kind:     global_buffer
      - .actual_access:  read_only
        .address_space:  global
        .offset:         24
        .size:           8
        .value_kind:     global_buffer
      - .actual_access:  read_only
        .address_space:  global
        .offset:         32
        .size:           8
        .value_kind:     global_buffer
      - .offset:         40
        .size:           8
        .value_kind:     by_value
      - .actual_access:  read_only
        .address_space:  global
        .offset:         48
        .size:           8
        .value_kind:     global_buffer
      - .actual_access:  read_only
        .address_space:  global
        .offset:         56
        .size:           8
        .value_kind:     global_buffer
      - .offset:         64
        .size:           4
        .value_kind:     by_value
      - .actual_access:  read_only
        .address_space:  global
        .offset:         72
        .size:           8
        .value_kind:     global_buffer
      - .actual_access:  read_only
        .address_space:  global
        .offset:         80
        .size:           8
        .value_kind:     global_buffer
      - .actual_access:  read_only
        .address_space:  global
        .offset:         88
        .size:           8
        .value_kind:     global_buffer
      - .actual_access:  write_only
        .address_space:  global
        .offset:         96
        .size:           8
        .value_kind:     global_buffer
    .group_segment_fixed_size: 0
    .kernarg_segment_align: 8
    .kernarg_segment_size: 104
    .language:       OpenCL C
    .language_version:
      - 2
      - 0
    .max_flat_workgroup_size: 182
    .name:           fft_rtc_fwd_len1456_factors_13_4_7_2_2_wgs_182_tpt_182_halfLds_half_op_CI_CI_sbrr_dirReg
    .private_segment_fixed_size: 0
    .sgpr_count:     44
    .sgpr_spill_count: 0
    .symbol:         fft_rtc_fwd_len1456_factors_13_4_7_2_2_wgs_182_tpt_182_halfLds_half_op_CI_CI_sbrr_dirReg.kd
    .uniform_work_group_size: 1
    .uses_dynamic_stack: false
    .vgpr_count:     84
    .vgpr_spill_count: 0
    .wavefront_size: 64
amdhsa.target:   amdgcn-amd-amdhsa--gfx950
amdhsa.version:
  - 1
  - 2
...

	.end_amdgpu_metadata
